;; amdgpu-corpus repo=ROCm/rocFFT kind=compiled arch=gfx906 opt=O3
	.text
	.amdgcn_target "amdgcn-amd-amdhsa--gfx906"
	.amdhsa_code_object_version 6
	.protected	fft_rtc_fwd_len990_factors_2_3_3_5_11_wgs_110_tpt_110_half_op_CI_CI_unitstride_sbrr_C2R_dirReg ; -- Begin function fft_rtc_fwd_len990_factors_2_3_3_5_11_wgs_110_tpt_110_half_op_CI_CI_unitstride_sbrr_C2R_dirReg
	.globl	fft_rtc_fwd_len990_factors_2_3_3_5_11_wgs_110_tpt_110_half_op_CI_CI_unitstride_sbrr_C2R_dirReg
	.p2align	8
	.type	fft_rtc_fwd_len990_factors_2_3_3_5_11_wgs_110_tpt_110_half_op_CI_CI_unitstride_sbrr_C2R_dirReg,@function
fft_rtc_fwd_len990_factors_2_3_3_5_11_wgs_110_tpt_110_half_op_CI_CI_unitstride_sbrr_C2R_dirReg: ; @fft_rtc_fwd_len990_factors_2_3_3_5_11_wgs_110_tpt_110_half_op_CI_CI_unitstride_sbrr_C2R_dirReg
; %bb.0:
	s_load_dwordx4 s[8:11], s[4:5], 0x58
	s_load_dwordx4 s[12:15], s[4:5], 0x0
	;; [unrolled: 1-line block ×3, first 2 shown]
	v_mul_u32_u24_e32 v1, 0x254, v0
	v_mov_b32_e32 v8, 0
	v_mov_b32_e32 v6, 0
	s_waitcnt lgkmcnt(0)
	v_cmp_lt_u64_e64 s[0:1], s[14:15], 2
	v_add_u32_sdwa v10, s6, v1 dst_sel:DWORD dst_unused:UNUSED_PAD src0_sel:DWORD src1_sel:WORD_1
	v_mov_b32_e32 v11, v8
	s_and_b64 vcc, exec, s[0:1]
	v_mov_b32_e32 v7, 0
	s_cbranch_vccnz .LBB0_8
; %bb.1:
	s_load_dwordx2 s[0:1], s[4:5], 0x10
	s_add_u32 s2, s18, 8
	s_addc_u32 s3, s19, 0
	s_add_u32 s6, s16, 8
	s_addc_u32 s7, s17, 0
	v_mov_b32_e32 v6, 0
	s_waitcnt lgkmcnt(0)
	s_add_u32 s20, s0, 8
	v_mov_b32_e32 v7, 0
	v_mov_b32_e32 v1, v6
	s_addc_u32 s21, s1, 0
	s_mov_b64 s[22:23], 1
	v_mov_b32_e32 v2, v7
.LBB0_2:                                ; =>This Inner Loop Header: Depth=1
	s_load_dwordx2 s[24:25], s[20:21], 0x0
                                        ; implicit-def: $vgpr3_vgpr4
	s_waitcnt lgkmcnt(0)
	v_or_b32_e32 v9, s25, v11
	v_cmp_ne_u64_e32 vcc, 0, v[8:9]
	s_and_saveexec_b64 s[0:1], vcc
	s_xor_b64 s[26:27], exec, s[0:1]
	s_cbranch_execz .LBB0_4
; %bb.3:                                ;   in Loop: Header=BB0_2 Depth=1
	v_cvt_f32_u32_e32 v3, s24
	v_cvt_f32_u32_e32 v4, s25
	s_sub_u32 s0, 0, s24
	s_subb_u32 s1, 0, s25
	v_mac_f32_e32 v3, 0x4f800000, v4
	v_rcp_f32_e32 v3, v3
	v_mul_f32_e32 v3, 0x5f7ffffc, v3
	v_mul_f32_e32 v4, 0x2f800000, v3
	v_trunc_f32_e32 v4, v4
	v_mac_f32_e32 v3, 0xcf800000, v4
	v_cvt_u32_f32_e32 v4, v4
	v_cvt_u32_f32_e32 v3, v3
	v_mul_lo_u32 v5, s0, v4
	v_mul_hi_u32 v9, s0, v3
	v_mul_lo_u32 v13, s1, v3
	v_mul_lo_u32 v12, s0, v3
	v_add_u32_e32 v5, v9, v5
	v_add_u32_e32 v5, v5, v13
	v_mul_hi_u32 v9, v3, v12
	v_mul_lo_u32 v13, v3, v5
	v_mul_hi_u32 v15, v3, v5
	v_mul_hi_u32 v14, v4, v12
	v_mul_lo_u32 v12, v4, v12
	v_mul_hi_u32 v16, v4, v5
	v_add_co_u32_e32 v9, vcc, v9, v13
	v_addc_co_u32_e32 v13, vcc, 0, v15, vcc
	v_mul_lo_u32 v5, v4, v5
	v_add_co_u32_e32 v9, vcc, v9, v12
	v_addc_co_u32_e32 v9, vcc, v13, v14, vcc
	v_addc_co_u32_e32 v12, vcc, 0, v16, vcc
	v_add_co_u32_e32 v5, vcc, v9, v5
	v_addc_co_u32_e32 v9, vcc, 0, v12, vcc
	v_add_co_u32_e32 v3, vcc, v3, v5
	v_addc_co_u32_e32 v4, vcc, v4, v9, vcc
	v_mul_lo_u32 v5, s0, v4
	v_mul_hi_u32 v9, s0, v3
	v_mul_lo_u32 v12, s1, v3
	v_mul_lo_u32 v13, s0, v3
	v_add_u32_e32 v5, v9, v5
	v_add_u32_e32 v5, v5, v12
	v_mul_lo_u32 v14, v3, v5
	v_mul_hi_u32 v15, v3, v13
	v_mul_hi_u32 v16, v3, v5
	v_mul_hi_u32 v12, v4, v13
	v_mul_lo_u32 v13, v4, v13
	v_mul_hi_u32 v9, v4, v5
	v_add_co_u32_e32 v14, vcc, v15, v14
	v_addc_co_u32_e32 v15, vcc, 0, v16, vcc
	v_mul_lo_u32 v5, v4, v5
	v_add_co_u32_e32 v13, vcc, v14, v13
	v_addc_co_u32_e32 v12, vcc, v15, v12, vcc
	v_addc_co_u32_e32 v9, vcc, 0, v9, vcc
	v_add_co_u32_e32 v5, vcc, v12, v5
	v_addc_co_u32_e32 v9, vcc, 0, v9, vcc
	v_add_co_u32_e32 v5, vcc, v3, v5
	v_addc_co_u32_e32 v9, vcc, v4, v9, vcc
	v_mad_u64_u32 v[3:4], s[0:1], v10, v9, 0
	v_mul_hi_u32 v12, v10, v5
	v_add_co_u32_e32 v14, vcc, v12, v3
	v_addc_co_u32_e32 v15, vcc, 0, v4, vcc
	v_mad_u64_u32 v[3:4], s[0:1], v11, v5, 0
	v_mad_u64_u32 v[12:13], s[0:1], v11, v9, 0
	v_add_co_u32_e32 v3, vcc, v14, v3
	v_addc_co_u32_e32 v3, vcc, v15, v4, vcc
	v_addc_co_u32_e32 v4, vcc, 0, v13, vcc
	v_add_co_u32_e32 v5, vcc, v3, v12
	v_addc_co_u32_e32 v9, vcc, 0, v4, vcc
	v_mul_lo_u32 v12, s25, v5
	v_mul_lo_u32 v13, s24, v9
	v_mad_u64_u32 v[3:4], s[0:1], s24, v5, 0
	v_add3_u32 v4, v4, v13, v12
	v_sub_u32_e32 v12, v11, v4
	v_mov_b32_e32 v13, s25
	v_sub_co_u32_e32 v3, vcc, v10, v3
	v_subb_co_u32_e64 v12, s[0:1], v12, v13, vcc
	v_subrev_co_u32_e64 v13, s[0:1], s24, v3
	v_subbrev_co_u32_e64 v12, s[0:1], 0, v12, s[0:1]
	v_cmp_le_u32_e64 s[0:1], s25, v12
	v_cndmask_b32_e64 v14, 0, -1, s[0:1]
	v_cmp_le_u32_e64 s[0:1], s24, v13
	v_cndmask_b32_e64 v13, 0, -1, s[0:1]
	v_cmp_eq_u32_e64 s[0:1], s25, v12
	v_cndmask_b32_e64 v12, v14, v13, s[0:1]
	v_add_co_u32_e64 v13, s[0:1], 2, v5
	v_addc_co_u32_e64 v14, s[0:1], 0, v9, s[0:1]
	v_add_co_u32_e64 v15, s[0:1], 1, v5
	v_addc_co_u32_e64 v16, s[0:1], 0, v9, s[0:1]
	v_subb_co_u32_e32 v4, vcc, v11, v4, vcc
	v_cmp_ne_u32_e64 s[0:1], 0, v12
	v_cmp_le_u32_e32 vcc, s25, v4
	v_cndmask_b32_e64 v12, v16, v14, s[0:1]
	v_cndmask_b32_e64 v14, 0, -1, vcc
	v_cmp_le_u32_e32 vcc, s24, v3
	v_cndmask_b32_e64 v3, 0, -1, vcc
	v_cmp_eq_u32_e32 vcc, s25, v4
	v_cndmask_b32_e32 v3, v14, v3, vcc
	v_cmp_ne_u32_e32 vcc, 0, v3
	v_cndmask_b32_e64 v3, v15, v13, s[0:1]
	v_cndmask_b32_e32 v4, v9, v12, vcc
	v_cndmask_b32_e32 v3, v5, v3, vcc
.LBB0_4:                                ;   in Loop: Header=BB0_2 Depth=1
	s_andn2_saveexec_b64 s[0:1], s[26:27]
	s_cbranch_execz .LBB0_6
; %bb.5:                                ;   in Loop: Header=BB0_2 Depth=1
	v_cvt_f32_u32_e32 v3, s24
	s_sub_i32 s26, 0, s24
	v_rcp_iflag_f32_e32 v3, v3
	v_mul_f32_e32 v3, 0x4f7ffffe, v3
	v_cvt_u32_f32_e32 v3, v3
	v_mul_lo_u32 v4, s26, v3
	v_mul_hi_u32 v4, v3, v4
	v_add_u32_e32 v3, v3, v4
	v_mul_hi_u32 v3, v10, v3
	v_mul_lo_u32 v4, v3, s24
	v_add_u32_e32 v5, 1, v3
	v_sub_u32_e32 v4, v10, v4
	v_subrev_u32_e32 v9, s24, v4
	v_cmp_le_u32_e32 vcc, s24, v4
	v_cndmask_b32_e32 v4, v4, v9, vcc
	v_cndmask_b32_e32 v3, v3, v5, vcc
	v_add_u32_e32 v5, 1, v3
	v_cmp_le_u32_e32 vcc, s24, v4
	v_cndmask_b32_e32 v3, v3, v5, vcc
	v_mov_b32_e32 v4, v8
.LBB0_6:                                ;   in Loop: Header=BB0_2 Depth=1
	s_or_b64 exec, exec, s[0:1]
	v_mul_lo_u32 v5, v4, s24
	v_mul_lo_u32 v9, v3, s25
	v_mad_u64_u32 v[12:13], s[0:1], v3, s24, 0
	s_load_dwordx2 s[0:1], s[6:7], 0x0
	s_load_dwordx2 s[24:25], s[2:3], 0x0
	v_add3_u32 v5, v13, v9, v5
	v_sub_co_u32_e32 v9, vcc, v10, v12
	v_subb_co_u32_e32 v5, vcc, v11, v5, vcc
	s_waitcnt lgkmcnt(0)
	v_mul_lo_u32 v10, s0, v5
	v_mul_lo_u32 v11, s1, v9
	v_mad_u64_u32 v[6:7], s[0:1], s0, v9, v[6:7]
	s_add_u32 s22, s22, 1
	s_addc_u32 s23, s23, 0
	s_add_u32 s2, s2, 8
	v_mul_lo_u32 v5, s24, v5
	v_mul_lo_u32 v12, s25, v9
	v_mad_u64_u32 v[1:2], s[0:1], s24, v9, v[1:2]
	v_add3_u32 v7, v11, v7, v10
	s_addc_u32 s3, s3, 0
	v_mov_b32_e32 v9, s14
	s_add_u32 s6, s6, 8
	v_mov_b32_e32 v10, s15
	s_addc_u32 s7, s7, 0
	v_cmp_ge_u64_e32 vcc, s[22:23], v[9:10]
	s_add_u32 s20, s20, 8
	v_add3_u32 v2, v12, v2, v5
	s_addc_u32 s21, s21, 0
	s_cbranch_vccnz .LBB0_9
; %bb.7:                                ;   in Loop: Header=BB0_2 Depth=1
	v_mov_b32_e32 v11, v4
	v_mov_b32_e32 v10, v3
	s_branch .LBB0_2
.LBB0_8:
	v_mov_b32_e32 v1, v6
	v_mov_b32_e32 v3, v10
	;; [unrolled: 1-line block ×4, first 2 shown]
.LBB0_9:
	s_load_dwordx2 s[0:1], s[4:5], 0x28
	s_lshl_b64 s[6:7], s[14:15], 3
	s_add_u32 s2, s18, s6
	s_addc_u32 s3, s19, s7
                                        ; implicit-def: $vgpr5
	s_waitcnt lgkmcnt(0)
	v_cmp_gt_u64_e32 vcc, s[0:1], v[3:4]
	v_cmp_le_u64_e64 s[0:1], s[0:1], v[3:4]
	s_and_saveexec_b64 s[4:5], s[0:1]
	s_xor_b64 s[0:1], exec, s[4:5]
; %bb.10:
	s_mov_b32 s4, 0x253c826
	v_mul_hi_u32 v5, v0, s4
                                        ; implicit-def: $vgpr6_vgpr7
	v_mul_u32_u24_e32 v5, 0x6e, v5
	v_sub_u32_e32 v5, v0, v5
                                        ; implicit-def: $vgpr0
; %bb.11:
	s_or_saveexec_b64 s[4:5], s[0:1]
	s_load_dwordx2 s[2:3], s[2:3], 0x0
	s_xor_b64 exec, exec, s[4:5]
	s_cbranch_execz .LBB0_15
; %bb.12:
	s_add_u32 s0, s16, s6
	s_addc_u32 s1, s17, s7
	s_load_dwordx2 s[0:1], s[0:1], 0x0
	s_mov_b32 s6, 0x253c826
	v_mul_hi_u32 v5, v0, s6
	v_lshlrev_b64 v[6:7], 2, v[6:7]
	s_waitcnt lgkmcnt(0)
	v_mul_lo_u32 v10, s1, v3
	v_mul_lo_u32 v11, s0, v4
	v_mad_u64_u32 v[8:9], s[0:1], s0, v3, 0
	v_mul_u32_u24_e32 v5, 0x6e, v5
	v_sub_u32_e32 v5, v0, v5
	v_add3_u32 v9, v9, v11, v10
	v_lshlrev_b64 v[8:9], 2, v[8:9]
	v_mov_b32_e32 v0, s9
	v_add_co_u32_e64 v8, s[0:1], s8, v8
	v_addc_co_u32_e64 v0, s[0:1], v0, v9, s[0:1]
	v_add_co_u32_e64 v6, s[0:1], v8, v6
	v_addc_co_u32_e64 v7, s[0:1], v0, v7, s[0:1]
	v_lshlrev_b32_e32 v0, 2, v5
	v_add_co_u32_e64 v8, s[0:1], v6, v0
	v_addc_co_u32_e64 v9, s[0:1], 0, v7, s[0:1]
	global_load_dword v10, v[8:9], off
	global_load_dword v11, v[8:9], off offset:440
	global_load_dword v12, v[8:9], off offset:880
	;; [unrolled: 1-line block ×8, first 2 shown]
	s_movk_i32 s0, 0x6d
	v_add_u32_e32 v0, 0, v0
	v_cmp_eq_u32_e64 s[0:1], s0, v5
	v_add_u32_e32 v8, 0x200, v0
	v_add_u32_e32 v9, 0x600, v0
	;; [unrolled: 1-line block ×3, first 2 shown]
	s_waitcnt vmcnt(7)
	ds_write2_b32 v0, v10, v11 offset1:110
	s_waitcnt vmcnt(5)
	ds_write2_b32 v8, v12, v13 offset0:92 offset1:202
	s_waitcnt vmcnt(3)
	ds_write2_b32 v9, v14, v15 offset0:56 offset1:166
	;; [unrolled: 2-line block ×3, first 2 shown]
	s_waitcnt vmcnt(0)
	ds_write_b32 v0, v18 offset:3520
	s_and_saveexec_b64 s[6:7], s[0:1]
	s_cbranch_execz .LBB0_14
; %bb.13:
	global_load_dword v0, v[6:7], off offset:3960
	v_mov_b32_e32 v5, 0
	s_waitcnt vmcnt(0)
	ds_write_b32 v5, v0 offset:3960
	v_mov_b32_e32 v5, 0x6d
.LBB0_14:
	s_or_b64 exec, exec, s[6:7]
.LBB0_15:
	s_or_b64 exec, exec, s[4:5]
	v_lshlrev_b32_e32 v9, 2, v5
	v_add_u32_e32 v0, 0, v9
	s_waitcnt lgkmcnt(0)
	s_barrier
	v_sub_u32_e32 v8, 0, v9
	ds_read_u16 v12, v0
	ds_read_u16 v13, v8 offset:3960
	v_cmp_ne_u32_e64 s[0:1], 0, v5
                                        ; implicit-def: $vgpr6_vgpr7
	s_waitcnt lgkmcnt(0)
	v_add_f16_e32 v10, v13, v12
	v_sub_f16_e32 v11, v12, v13
	s_and_saveexec_b64 s[4:5], s[0:1]
	s_xor_b64 s[4:5], exec, s[4:5]
	s_cbranch_execz .LBB0_17
; %bb.16:
	v_mov_b32_e32 v6, 0
	v_lshlrev_b64 v[10:11], 2, v[5:6]
	v_mov_b32_e32 v7, s13
	v_add_co_u32_e64 v10, s[0:1], s12, v10
	v_addc_co_u32_e64 v11, s[0:1], v7, v11, s[0:1]
	global_load_dword v7, v[10:11], off offset:3952
	ds_read_u16 v10, v8 offset:3962
	ds_read_u16 v11, v0 offset:2
	v_add_f16_e32 v14, v13, v12
	v_sub_f16_e32 v12, v12, v13
	s_waitcnt lgkmcnt(0)
	v_add_f16_e32 v13, v10, v11
	v_sub_f16_e32 v10, v11, v10
	s_waitcnt vmcnt(0)
	v_lshrrev_b32_e32 v11, 16, v7
	v_fma_f16 v15, v12, v11, v14
	v_fma_f16 v16, v13, v11, v10
	v_fma_f16 v14, -v12, v11, v14
	v_fma_f16 v17, v13, v11, -v10
	v_fma_f16 v10, -v7, v13, v15
	v_fma_f16 v11, v12, v7, v16
	v_fma_f16 v13, v7, v13, v14
	;; [unrolled: 1-line block ×3, first 2 shown]
	v_pack_b32_f16 v7, v13, v7
	ds_write_b32 v8, v7 offset:3960
	v_mov_b32_e32 v7, v6
	v_mov_b32_e32 v6, v5
.LBB0_17:
	s_andn2_saveexec_b64 s[0:1], s[4:5]
	s_cbranch_execz .LBB0_19
; %bb.18:
	v_mov_b32_e32 v12, 0
	ds_read_b32 v6, v12 offset:1980
	s_mov_b32 s4, 0xc0004000
	s_waitcnt lgkmcnt(0)
	v_pk_mul_f16 v13, v6, s4
	v_mov_b32_e32 v6, 0
	v_mov_b32_e32 v7, 0
	ds_write_b32 v12, v13 offset:1980
.LBB0_19:
	s_or_b64 exec, exec, s[0:1]
	s_add_u32 s0, s12, 0xf70
	v_lshlrev_b64 v[6:7], 2, v[6:7]
	s_addc_u32 s1, s13, 0
	v_mov_b32_e32 v12, s1
	v_add_co_u32_e64 v6, s[0:1], s0, v6
	v_addc_co_u32_e64 v7, s[0:1], v12, v7, s[0:1]
	global_load_dword v12, v[6:7], off offset:440
	global_load_dword v13, v[6:7], off offset:880
	;; [unrolled: 1-line block ×3, first 2 shown]
	s_mov_b32 s0, 0x5040100
	v_perm_b32 v10, v11, v10, s0
	ds_write_b32 v0, v10
	ds_read_b32 v10, v0 offset:440
	ds_read_b32 v11, v8 offset:3520
	v_cmp_gt_u32_e64 s[0:1], 55, v5
	s_waitcnt lgkmcnt(0)
	v_add_f16_e32 v15, v10, v11
	v_add_f16_sdwa v16, v11, v10 dst_sel:DWORD dst_unused:UNUSED_PAD src0_sel:WORD_1 src1_sel:WORD_1
	v_sub_f16_e32 v17, v10, v11
	v_sub_f16_sdwa v10, v10, v11 dst_sel:DWORD dst_unused:UNUSED_PAD src0_sel:WORD_1 src1_sel:WORD_1
	s_waitcnt vmcnt(2)
	v_lshrrev_b32_e32 v11, 16, v12
	v_fma_f16 v18, v17, v11, v15
	v_fma_f16 v19, v16, v11, v10
	v_fma_f16 v15, -v17, v11, v15
	v_fma_f16 v10, v16, v11, -v10
	v_fma_f16 v11, -v12, v16, v18
	v_fma_f16 v18, v17, v12, v19
	v_fma_f16 v15, v12, v16, v15
	v_fma_f16 v10, v17, v12, v10
	v_pack_b32_f16 v11, v11, v18
	v_pack_b32_f16 v10, v15, v10
	ds_write_b32 v0, v11 offset:440
	ds_write_b32 v8, v10 offset:3520
	ds_read_b32 v10, v0 offset:880
	ds_read_b32 v11, v8 offset:3080
	s_waitcnt vmcnt(1)
	v_lshrrev_b32_e32 v12, 16, v13
	s_waitcnt lgkmcnt(0)
	v_add_f16_e32 v15, v10, v11
	v_add_f16_sdwa v16, v11, v10 dst_sel:DWORD dst_unused:UNUSED_PAD src0_sel:WORD_1 src1_sel:WORD_1
	v_sub_f16_e32 v17, v10, v11
	v_sub_f16_sdwa v10, v10, v11 dst_sel:DWORD dst_unused:UNUSED_PAD src0_sel:WORD_1 src1_sel:WORD_1
	v_fma_f16 v11, v17, v12, v15
	v_fma_f16 v18, v16, v12, v10
	v_fma_f16 v15, -v17, v12, v15
	v_fma_f16 v10, v16, v12, -v10
	v_fma_f16 v11, -v13, v16, v11
	v_fma_f16 v12, v17, v13, v18
	v_fma_f16 v15, v13, v16, v15
	;; [unrolled: 1-line block ×3, first 2 shown]
	v_pack_b32_f16 v11, v11, v12
	v_pack_b32_f16 v10, v15, v10
	ds_write_b32 v0, v11 offset:880
	ds_write_b32 v8, v10 offset:3080
	ds_read_b32 v10, v0 offset:1320
	ds_read_b32 v11, v8 offset:2640
	s_waitcnt vmcnt(0)
	v_lshrrev_b32_e32 v12, 16, v14
	s_waitcnt lgkmcnt(0)
	v_add_f16_e32 v13, v10, v11
	v_add_f16_sdwa v15, v11, v10 dst_sel:DWORD dst_unused:UNUSED_PAD src0_sel:WORD_1 src1_sel:WORD_1
	v_sub_f16_e32 v16, v10, v11
	v_sub_f16_sdwa v10, v10, v11 dst_sel:DWORD dst_unused:UNUSED_PAD src0_sel:WORD_1 src1_sel:WORD_1
	v_fma_f16 v11, v16, v12, v13
	v_fma_f16 v17, v15, v12, v10
	v_fma_f16 v13, -v16, v12, v13
	v_fma_f16 v10, v15, v12, -v10
	v_fma_f16 v11, -v14, v15, v11
	v_fma_f16 v12, v16, v14, v17
	v_fma_f16 v13, v14, v15, v13
	;; [unrolled: 1-line block ×3, first 2 shown]
	v_pack_b32_f16 v11, v11, v12
	v_pack_b32_f16 v10, v13, v10
	ds_write_b32 v0, v11 offset:1320
	ds_write_b32 v8, v10 offset:2640
	s_and_saveexec_b64 s[4:5], s[0:1]
	s_cbranch_execz .LBB0_21
; %bb.20:
	global_load_dword v6, v[6:7], off offset:1760
	ds_read_b32 v7, v0 offset:1760
	ds_read_b32 v10, v8 offset:2200
	s_waitcnt lgkmcnt(0)
	v_add_f16_e32 v11, v7, v10
	v_add_f16_sdwa v12, v10, v7 dst_sel:DWORD dst_unused:UNUSED_PAD src0_sel:WORD_1 src1_sel:WORD_1
	v_sub_f16_e32 v13, v7, v10
	v_sub_f16_sdwa v7, v7, v10 dst_sel:DWORD dst_unused:UNUSED_PAD src0_sel:WORD_1 src1_sel:WORD_1
	s_waitcnt vmcnt(0)
	v_lshrrev_b32_e32 v10, 16, v6
	v_fma_f16 v14, v13, v10, v11
	v_fma_f16 v15, v12, v10, v7
	v_fma_f16 v11, -v13, v10, v11
	v_fma_f16 v7, v12, v10, -v7
	v_fma_f16 v10, -v6, v12, v14
	v_fma_f16 v14, v13, v6, v15
	v_fma_f16 v11, v6, v12, v11
	;; [unrolled: 1-line block ×3, first 2 shown]
	v_pack_b32_f16 v7, v10, v14
	v_pack_b32_f16 v6, v11, v6
	ds_write_b32 v0, v7 offset:1760
	ds_write_b32 v8, v6 offset:2200
.LBB0_21:
	s_or_b64 exec, exec, s[4:5]
	v_add_u32_e32 v6, 0x400, v0
	v_add_u32_e32 v8, 0xc00, v0
	s_waitcnt lgkmcnt(0)
	s_barrier
	s_barrier
	ds_read2_b32 v[6:7], v6 offset0:184 offset1:239
	ds_read2_b32 v[10:11], v8 offset0:57 offset1:167
	ds_read2_b32 v[13:14], v0 offset1:110
	v_add_u32_e32 v15, 0x6e, v5
	v_add_u32_e32 v8, 0xdc, v5
	v_lshl_add_u32 v23, v5, 3, 0
	s_waitcnt lgkmcnt(1)
	v_pk_add_f16 v12, v6, v11 neg_lo:[0,1] neg_hi:[0,1]
	s_waitcnt lgkmcnt(0)
	v_pk_add_f16 v20, v13, v7 neg_lo:[0,1] neg_hi:[0,1]
	v_add_u32_e32 v7, 0x800, v0
	ds_read2_b32 v[16:17], v7 offset0:93 offset1:203
	v_add_u32_e32 v7, 0x200, v0
	ds_read2_b32 v[18:19], v7 offset0:92 offset1:202
	v_add_u32_e32 v11, v0, v9
	v_pk_fma_f16 v13, v13, 2.0, v20 op_sel_hi:[1,0,1] neg_lo:[0,0,1] neg_hi:[0,0,1]
	s_waitcnt lgkmcnt(1)
	v_pk_add_f16 v16, v14, v16 neg_lo:[0,1] neg_hi:[0,1]
	v_lshl_add_u32 v21, v15, 3, 0
	s_waitcnt lgkmcnt(0)
	v_pk_add_f16 v17, v18, v17 neg_lo:[0,1] neg_hi:[0,1]
	v_pk_add_f16 v10, v19, v10 neg_lo:[0,1] neg_hi:[0,1]
	v_pk_fma_f16 v14, v14, 2.0, v16 op_sel_hi:[1,0,1] neg_lo:[0,0,1] neg_hi:[0,0,1]
	v_lshl_add_u32 v22, v8, 3, 0
	v_pk_fma_f16 v18, v18, 2.0, v17 op_sel_hi:[1,0,1] neg_lo:[0,0,1] neg_hi:[0,0,1]
	v_add_u32_e32 v23, 0xa50, v23
	v_pk_fma_f16 v19, v19, 2.0, v10 op_sel_hi:[1,0,1] neg_lo:[0,0,1] neg_hi:[0,0,1]
	s_barrier
	ds_write2_b32 v11, v13, v20 offset1:1
	ds_write2_b32 v21, v14, v16 offset1:1
	;; [unrolled: 1-line block ×4, first 2 shown]
	s_and_saveexec_b64 s[4:5], s[0:1]
	s_cbranch_execz .LBB0_23
; %bb.22:
	s_movk_i32 s0, 0xdc0
	v_pk_fma_f16 v6, v6, 2.0, v12 op_sel_hi:[1,0,1] neg_lo:[0,0,1] neg_hi:[0,0,1]
	v_add3_u32 v9, v0, v9, s0
	ds_write2_b32 v9, v6, v12 offset1:1
.LBB0_23:
	s_or_b64 exec, exec, s[4:5]
	v_and_b32_e32 v6, 1, v5
	v_lshlrev_b32_e32 v9, 3, v6
	s_waitcnt lgkmcnt(0)
	s_barrier
	global_load_dwordx2 v[9:10], v9, s[12:13]
	v_add_u32_e32 v11, 0xa00, v0
	ds_read2_b32 v[13:14], v7 offset0:92 offset1:202
	v_add_u32_e32 v23, 0x600, v0
	ds_read_b32 v22, v0 offset:3520
	ds_read2_b32 v[16:17], v0 offset1:110
	ds_read2_b32 v[18:19], v11 offset0:20 offset1:130
	ds_read2_b32 v[20:21], v23 offset0:56 offset1:166
	s_movk_i32 s0, 0x3aee
	s_waitcnt lgkmcnt(4)
	v_lshrrev_b32_e32 v24, 16, v14
	s_waitcnt lgkmcnt(3)
	v_lshrrev_b32_e32 v25, 16, v22
	s_waitcnt lgkmcnt(1)
	v_lshrrev_b32_e32 v29, 16, v18
	v_lshrrev_b32_e32 v31, 16, v19
	s_waitcnt lgkmcnt(0)
	v_lshrrev_b32_e32 v30, 16, v20
	v_lshrrev_b32_e32 v27, 16, v17
	;; [unrolled: 1-line block ×4, first 2 shown]
	s_mov_b32 s1, 0xbaee
	s_waitcnt vmcnt(0)
	s_barrier
	s_movk_i32 s4, 0xab
	v_lshrrev_b32_e32 v32, 16, v9
	v_mul_f16_sdwa v33, v10, v29 dst_sel:DWORD dst_unused:UNUSED_PAD src0_sel:WORD_1 src1_sel:DWORD
	v_mul_f16_sdwa v34, v10, v18 dst_sel:DWORD dst_unused:UNUSED_PAD src0_sel:WORD_1 src1_sel:DWORD
	v_mul_f16_sdwa v35, v10, v31 dst_sel:DWORD dst_unused:UNUSED_PAD src0_sel:WORD_1 src1_sel:DWORD
	v_mul_f16_sdwa v36, v10, v19 dst_sel:DWORD dst_unused:UNUSED_PAD src0_sel:WORD_1 src1_sel:DWORD
	v_mul_f16_sdwa v37, v9, v21 dst_sel:DWORD dst_unused:UNUSED_PAD src0_sel:DWORD src1_sel:WORD_1
	v_mul_f16_sdwa v38, v10, v25 dst_sel:DWORD dst_unused:UNUSED_PAD src0_sel:WORD_1 src1_sel:DWORD
	v_mul_f16_sdwa v39, v10, v22 dst_sel:DWORD dst_unused:UNUSED_PAD src0_sel:WORD_1 src1_sel:DWORD
	v_fma_f16 v18, v10, v18, -v33
	v_fma_f16 v19, v10, v19, -v35
	v_fma_f16 v29, v10, v29, v34
	v_fma_f16 v31, v10, v31, v36
	v_mul_f16_e32 v33, v32, v24
	v_fma_f16 v22, v10, v22, -v38
	v_mul_f16_e32 v34, v32, v14
	v_fma_f16 v10, v10, v25, v39
	v_mul_f16_e32 v25, v32, v30
	v_mul_f16_e32 v35, v32, v20
	v_fma_f16 v36, v32, v21, v37
	v_mul_f16_sdwa v32, v32, v21 dst_sel:DWORD dst_unused:UNUSED_PAD src0_sel:DWORD src1_sel:WORD_1
	v_fma_f16 v20, v9, v20, -v25
	v_fma_f16 v21, v9, v21, -v32
	v_fma_f16 v25, v9, v30, v35
	v_fma_f16 v24, v9, v24, v34
	v_add_f16_e32 v30, v28, v36
	v_add_f16_e32 v32, v36, v10
	v_add_f16_e32 v37, v21, v22
	v_sub_f16_e32 v39, v25, v31
	v_add_f16_e32 v40, v27, v25
	v_add_f16_e32 v25, v25, v31
	v_fma_f16 v9, v9, v14, -v33
	v_sub_f16_e32 v14, v36, v10
	v_add_f16_e32 v34, v20, v19
	v_add_f16_e32 v36, v17, v20
	;; [unrolled: 1-line block ×4, first 2 shown]
	v_fma_f16 v28, v32, -0.5, v28
	v_sub_f16_e32 v30, v24, v29
	v_add_f16_e32 v32, v26, v24
	v_add_f16_e32 v24, v24, v29
	v_sub_f16_e32 v20, v20, v19
	v_sub_f16_e32 v21, v21, v22
	v_fma_f16 v13, v37, -0.5, v13
	v_fma_f16 v25, v25, -0.5, v27
	v_add_f16_e32 v33, v9, v18
	v_fma_f16 v24, v24, -0.5, v26
	v_add_f16_e32 v26, v40, v31
	v_fma_f16 v31, v20, s1, v25
	v_fma_f16 v20, v20, s0, v25
	;; [unrolled: 1-line block ×6, first 2 shown]
	v_lshrrev_b32_e32 v28, 1, v5
	v_add_f16_e32 v35, v16, v9
	v_sub_f16_e32 v9, v9, v18
	v_fma_f16 v16, v33, -0.5, v16
	v_mul_u32_u24_e32 v28, 6, v28
	v_fma_f16 v27, v30, s0, v16
	v_fma_f16 v16, v30, s1, v16
	;; [unrolled: 1-line block ×4, first 2 shown]
	v_or_b32_e32 v28, v28, v6
	v_lshl_add_u32 v28, v28, 2, 0
	v_pack_b32_f16 v9, v16, v9
	ds_write_b32 v28, v9 offset:16
	v_lshrrev_b32_e32 v9, 1, v15
	v_fma_f16 v17, v34, -0.5, v17
	v_add_f16_e32 v18, v35, v18
	v_add_f16_e32 v29, v32, v29
	v_mul_u32_u24_e32 v9, 6, v9
	v_add_f16_e32 v19, v36, v19
	v_fma_f16 v24, v39, s0, v17
	v_pack_b32_f16 v18, v18, v29
	v_pack_b32_f16 v27, v27, v30
	v_or_b32_e32 v9, v9, v6
	v_fma_f16 v17, v39, s1, v17
	ds_write2_b32 v28, v18, v27 offset1:2
	v_lshl_add_u32 v9, v9, 2, 0
	v_pack_b32_f16 v16, v19, v26
	v_pack_b32_f16 v18, v24, v31
	ds_write2_b32 v9, v16, v18 offset1:2
	v_pack_b32_f16 v16, v17, v20
	ds_write_b32 v9, v16 offset:16
	v_lshrrev_b32_e32 v9, 1, v8
	v_mul_u32_u24_e32 v9, 6, v9
	v_add_f16_e32 v22, v38, v22
	v_or_b32_e32 v6, v9, v6
	v_lshl_add_u32 v6, v6, 2, 0
	v_pack_b32_f16 v9, v22, v10
	v_pack_b32_f16 v10, v25, v14
	ds_write2_b32 v6, v9, v10 offset1:2
	v_pack_b32_f16 v9, v13, v21
	ds_write_b32 v6, v9 offset:16
	v_mul_lo_u16_sdwa v6, v5, s4 dst_sel:DWORD dst_unused:UNUSED_PAD src0_sel:BYTE_0 src1_sel:DWORD
	v_mul_lo_u16_sdwa v10, v15, s4 dst_sel:DWORD dst_unused:UNUSED_PAD src0_sel:BYTE_0 src1_sel:DWORD
	v_lshrrev_b16_e32 v24, 10, v6
	v_lshrrev_b16_e32 v26, 10, v10
	v_mul_lo_u16_e32 v6, 6, v24
	v_mul_lo_u16_e32 v10, 6, v26
	s_mov_b32 s4, 0xaaab
	v_sub_u16_e32 v25, v5, v6
	v_mov_b32_e32 v6, 3
	v_sub_u16_e32 v27, v15, v10
	v_mul_u32_u24_sdwa v13, v8, s4 dst_sel:DWORD dst_unused:UNUSED_PAD src0_sel:WORD_0 src1_sel:DWORD
	v_lshlrev_b32_sdwa v9, v6, v25 dst_sel:DWORD dst_unused:UNUSED_PAD src0_sel:DWORD src1_sel:BYTE_0
	v_lshlrev_b32_sdwa v6, v6, v27 dst_sel:DWORD dst_unused:UNUSED_PAD src0_sel:DWORD src1_sel:BYTE_0
	v_lshrrev_b32_e32 v28, 18, v13
	s_waitcnt lgkmcnt(0)
	s_barrier
	global_load_dwordx2 v[9:10], v9, s[12:13] offset:16
	s_nop 0
	global_load_dwordx2 v[13:14], v6, s[12:13] offset:16
	v_mul_lo_u16_e32 v6, 6, v28
	v_sub_u16_e32 v29, v8, v6
	v_lshlrev_b32_e32 v6, 3, v29
	global_load_dwordx2 v[16:17], v6, s[12:13] offset:16
	ds_read2_b32 v[18:19], v7 offset0:92 offset1:202
	ds_read2_b32 v[6:7], v11 offset0:20 offset1:130
	ds_read2_b32 v[20:21], v23 offset0:56 offset1:166
	ds_read_b32 v8, v0 offset:3520
	s_waitcnt lgkmcnt(3)
	v_lshrrev_b32_e32 v11, 16, v19
	s_waitcnt lgkmcnt(2)
	v_lshrrev_b32_e32 v22, 16, v6
	v_lshrrev_b32_e32 v30, 16, v7
	s_waitcnt lgkmcnt(1)
	v_lshrrev_b32_e32 v31, 16, v20
	v_lshrrev_b32_e32 v32, 16, v21
	s_waitcnt vmcnt(2)
	v_mul_f16_sdwa v33, v9, v11 dst_sel:DWORD dst_unused:UNUSED_PAD src0_sel:WORD_1 src1_sel:DWORD
	v_mul_f16_sdwa v35, v10, v6 dst_sel:DWORD dst_unused:UNUSED_PAD src0_sel:WORD_1 src1_sel:DWORD
	;; [unrolled: 1-line block ×3, first 2 shown]
	s_waitcnt vmcnt(1)
	v_mul_f16_sdwa v37, v14, v30 dst_sel:DWORD dst_unused:UNUSED_PAD src0_sel:WORD_1 src1_sel:DWORD
	v_mul_f16_sdwa v34, v9, v19 dst_sel:DWORD dst_unused:UNUSED_PAD src0_sel:WORD_1 src1_sel:DWORD
	;; [unrolled: 1-line block ×5, first 2 shown]
	s_waitcnt vmcnt(0)
	v_mul_f16_sdwa v41, v16, v32 dst_sel:DWORD dst_unused:UNUSED_PAD src0_sel:WORD_1 src1_sel:DWORD
	v_fma_f16 v22, v10, v22, v35
	v_fma_f16 v19, v9, v19, -v33
	v_fma_f16 v10, v10, v6, -v36
	;; [unrolled: 1-line block ×3, first 2 shown]
	v_mul_f16_sdwa v6, v16, v21 dst_sel:DWORD dst_unused:UNUSED_PAD src0_sel:WORD_1 src1_sel:DWORD
	s_waitcnt lgkmcnt(0)
	v_lshrrev_b32_e32 v7, 16, v8
	v_fma_f16 v14, v14, v30, v38
	v_fma_f16 v30, v13, v31, v39
	v_fma_f16 v13, v13, v20, -v40
	v_fma_f16 v20, v16, v21, -v41
	v_fma_f16 v21, v16, v32, v6
	v_mul_f16_sdwa v6, v7, v17 dst_sel:DWORD dst_unused:UNUSED_PAD src0_sel:DWORD src1_sel:WORD_1
	v_fma_f16 v11, v9, v11, v34
	v_fma_f16 v31, v8, v17, -v6
	v_mul_f16_sdwa v6, v8, v17 dst_sel:DWORD dst_unused:UNUSED_PAD src0_sel:DWORD src1_sel:WORD_1
	ds_read2_b32 v[8:9], v0 offset1:110
	v_fma_f16 v17, v7, v17, v6
	v_add_f16_e32 v6, v20, v31
	v_fma_f16 v7, v6, -0.5, v18
	v_sub_f16_e32 v16, v21, v17
	v_fma_f16 v6, v16, s0, v7
	v_fma_f16 v7, v16, s1, v7
	v_add_f16_e32 v16, v19, v10
	s_waitcnt lgkmcnt(0)
	v_fma_f16 v16, v16, -0.5, v8
	v_sub_f16_e32 v32, v11, v22
	v_fma_f16 v34, v32, s0, v16
	v_fma_f16 v32, v32, s1, v16
	v_lshrrev_b32_e32 v16, 16, v8
	v_add_f16_e32 v35, v16, v11
	v_add_f16_e32 v11, v11, v22
	;; [unrolled: 1-line block ×3, first 2 shown]
	v_fma_f16 v11, v11, -0.5, v16
	v_add_f16_e32 v8, v8, v10
	v_sub_f16_e32 v10, v19, v10
	v_lshrrev_b32_e32 v16, 16, v9
	v_fma_f16 v36, v10, s1, v11
	v_fma_f16 v10, v10, s0, v11
	v_add_f16_e32 v11, v13, v33
	v_add_f16_e32 v19, v16, v30
	v_fma_f16 v11, v11, -0.5, v9
	v_add_f16_e32 v9, v9, v13
	v_add_f16_e32 v37, v19, v14
	v_sub_f16_e32 v19, v30, v14
	v_add_f16_e32 v14, v30, v14
	v_fma_f16 v14, v14, -0.5, v16
	v_add_f16_e32 v9, v9, v33
	v_sub_f16_e32 v13, v13, v33
	v_lshrrev_b32_e32 v33, 16, v18
	v_add_f16_e32 v35, v35, v22
	v_fma_f16 v30, v13, s1, v14
	v_fma_f16 v22, v13, s0, v14
	v_fma_f16 v38, v19, s0, v11
	v_fma_f16 v13, v19, s1, v11
	v_add_f16_e32 v11, v33, v21
	v_add_f16_e32 v16, v11, v17
	;; [unrolled: 1-line block ×4, first 2 shown]
	v_fma_f16 v11, v11, -0.5, v33
	v_sub_f16_e32 v18, v20, v31
	v_mov_b32_e32 v19, 2
	v_fma_f16 v17, v18, s1, v11
	v_fma_f16 v18, v18, s0, v11
	v_mul_u32_u24_e32 v11, 0x48, v24
	v_lshlrev_b32_sdwa v20, v19, v25 dst_sel:DWORD dst_unused:UNUSED_PAD src0_sel:DWORD src1_sel:BYTE_0
	v_add3_u32 v11, 0, v11, v20
	v_pack_b32_f16 v8, v8, v35
	v_pack_b32_f16 v20, v34, v36
	s_barrier
	ds_write2_b32 v11, v8, v20 offset1:6
	v_pack_b32_f16 v8, v32, v10
	ds_write_b32 v11, v8 offset:48
	v_mul_u32_u24_e32 v8, 0x48, v26
	v_lshlrev_b32_sdwa v10, v19, v27 dst_sel:DWORD dst_unused:UNUSED_PAD src0_sel:DWORD src1_sel:BYTE_0
	v_add3_u32 v8, 0, v8, v10
	v_pack_b32_f16 v9, v9, v37
	v_pack_b32_f16 v10, v38, v30
	ds_write2_b32 v8, v9, v10 offset1:6
	v_pack_b32_f16 v9, v13, v22
	v_add_f16_e32 v14, v14, v31
	ds_write_b32 v8, v9 offset:48
	v_mul_u32_u24_e32 v8, 0x48, v28
	v_lshlrev_b32_e32 v9, 2, v29
	v_add3_u32 v8, 0, v8, v9
	v_pack_b32_f16 v9, v14, v16
	v_pack_b32_f16 v10, v6, v17
	ds_write2_b32 v8, v9, v10 offset1:6
	v_pack_b32_f16 v9, v7, v18
	ds_write_b32 v8, v9 offset:48
	s_waitcnt lgkmcnt(0)
	s_barrier
	ds_read2_b32 v[8:9], v0 offset1:198
	ds_read2_b32 v[10:11], v23 offset0:12 offset1:210
	ds_read_b32 v20, v0 offset:3168
	s_movk_i32 s0, 0x58
	v_cmp_gt_u32_e64 s[0:1], s0, v5
	s_and_saveexec_b64 s[4:5], s[0:1]
	s_cbranch_execz .LBB0_25
; %bb.24:
	v_add_u32_e32 v6, 0x100, v0
	ds_read2_b32 v[13:14], v6 offset0:46 offset1:244
	v_add_u32_e32 v6, 0x780, v0
	ds_read2_b32 v[6:7], v6 offset0:26 offset1:224
	ds_read_b32 v12, v0 offset:3608
	s_waitcnt lgkmcnt(2)
	v_lshrrev_b32_e32 v22, 16, v13
	v_lshrrev_b32_e32 v16, 16, v14
	s_waitcnt lgkmcnt(1)
	v_lshrrev_b32_e32 v17, 16, v6
	v_lshrrev_b32_e32 v18, 16, v7
.LBB0_25:
	s_or_b64 exec, exec, s[4:5]
	v_mov_b32_e32 v21, 57
	v_mul_lo_u16_sdwa v23, v5, v21 dst_sel:DWORD dst_unused:UNUSED_PAD src0_sel:BYTE_0 src1_sel:DWORD
	v_lshrrev_b16_e32 v36, 10, v23
	v_mul_lo_u16_sdwa v21, v15, v21 dst_sel:DWORD dst_unused:UNUSED_PAD src0_sel:BYTE_0 src1_sel:DWORD
	v_mul_lo_u16_e32 v23, 18, v36
	v_lshrrev_b16_e32 v26, 10, v21
	v_sub_u16_e32 v23, v5, v23
	v_mov_b32_e32 v24, 4
	v_mul_lo_u16_e32 v21, 18, v26
	v_lshlrev_b32_sdwa v25, v24, v23 dst_sel:DWORD dst_unused:UNUSED_PAD src0_sel:DWORD src1_sel:BYTE_0
	v_sub_u16_e32 v27, v15, v21
	global_load_dwordx4 v[28:31], v25, s[12:13] offset:64
	v_lshlrev_b32_sdwa v15, v24, v27 dst_sel:DWORD dst_unused:UNUSED_PAD src0_sel:DWORD src1_sel:BYTE_0
	global_load_dwordx4 v[32:35], v15, s[12:13] offset:64
	s_waitcnt lgkmcnt(2)
	v_lshrrev_b32_e32 v21, 16, v9
	s_waitcnt lgkmcnt(1)
	v_lshrrev_b32_e32 v24, 16, v10
	v_lshrrev_b32_e32 v25, 16, v11
	s_waitcnt lgkmcnt(0)
	v_lshrrev_b32_e32 v37, 16, v20
	v_lshlrev_b32_sdwa v39, v19, v23 dst_sel:DWORD dst_unused:UNUSED_PAD src0_sel:DWORD src1_sel:BYTE_0
	v_lshrrev_b32_e32 v38, 16, v12
	v_lshrrev_b32_e32 v15, 16, v8
	s_movk_i32 s4, 0x3b9c
	s_mov_b32 s7, 0xbb9c
	s_movk_i32 s5, 0x38b4
	s_mov_b32 s8, 0xb8b4
	s_movk_i32 s6, 0x34f2
	s_waitcnt vmcnt(0)
	s_barrier
	v_mul_f16_sdwa v19, v29, v24 dst_sel:DWORD dst_unused:UNUSED_PAD src0_sel:WORD_1 src1_sel:DWORD
	v_mul_f16_sdwa v40, v30, v25 dst_sel:DWORD dst_unused:UNUSED_PAD src0_sel:WORD_1 src1_sel:DWORD
	;; [unrolled: 1-line block ×8, first 2 shown]
	v_mul_f16_sdwa v48, v17, v33 dst_sel:DWORD dst_unused:UNUSED_PAD src0_sel:DWORD src1_sel:WORD_1
	v_mul_f16_sdwa v49, v6, v33 dst_sel:DWORD dst_unused:UNUSED_PAD src0_sel:DWORD src1_sel:WORD_1
	;; [unrolled: 1-line block ×3, first 2 shown]
	v_fma_f16 v19, v29, v10, -v19
	v_fma_f16 v40, v30, v11, -v40
	;; [unrolled: 1-line block ×4, first 2 shown]
	v_mul_f16_sdwa v46, v16, v32 dst_sel:DWORD dst_unused:UNUSED_PAD src0_sel:DWORD src1_sel:WORD_1
	v_mul_f16_sdwa v47, v14, v32 dst_sel:DWORD dst_unused:UNUSED_PAD src0_sel:DWORD src1_sel:WORD_1
	;; [unrolled: 1-line block ×5, first 2 shown]
	v_fma_f16 v23, v29, v24, v23
	v_fma_f16 v21, v28, v21, v42
	;; [unrolled: 1-line block ×4, first 2 shown]
	v_fma_f16 v25, v6, v33, -v48
	v_fma_f16 v28, v7, v34, -v50
	v_fma_f16 v31, v17, v33, v49
	v_add_f16_e32 v6, v8, v9
	v_add_f16_e32 v7, v19, v40
	;; [unrolled: 1-line block ×3, first 2 shown]
	v_fma_f16 v29, v16, v32, v47
	v_fma_f16 v30, v14, v32, -v46
	v_fma_f16 v32, v18, v34, v51
	v_fma_f16 v33, v12, v35, -v52
	v_fma_f16 v34, v38, v35, v53
	v_sub_f16_e32 v11, v21, v20
	v_sub_f16_e32 v12, v23, v24
	;; [unrolled: 1-line block ×6, first 2 shown]
	v_add_f16_e32 v37, v15, v21
	v_fma_f16 v7, v7, -0.5, v8
	v_fma_f16 v8, v17, -0.5, v8
	v_add_f16_e32 v6, v6, v19
	v_add_f16_e32 v38, v23, v24
	;; [unrolled: 1-line block ×5, first 2 shown]
	v_fma_f16 v35, v11, s4, v7
	v_fma_f16 v7, v11, s7, v7
	;; [unrolled: 1-line block ×4, first 2 shown]
	v_add_f16_e32 v6, v6, v40
	v_sub_f16_e32 v9, v9, v10
	v_fma_f16 v18, v38, -0.5, v15
	v_fma_f16 v35, v12, s5, v35
	v_fma_f16 v12, v12, s8, v7
	v_add_f16_e32 v6, v6, v10
	v_fma_f16 v10, v11, s5, v37
	v_fma_f16 v11, v11, s8, v8
	;; [unrolled: 1-line block ×7, first 2 shown]
	v_sub_f16_e32 v14, v19, v40
	v_sub_f16_e32 v17, v21, v23
	;; [unrolled: 1-line block ×3, first 2 shown]
	v_fma_f16 v12, v14, s8, v12
	v_add_f16_e32 v19, v17, v19
	v_fma_f16 v17, v19, s6, v12
	v_fma_f16 v12, v9, s4, v18
	;; [unrolled: 1-line block ×4, first 2 shown]
	v_add_f16_e32 v12, v21, v20
	v_fma_f16 v12, v12, -0.5, v15
	v_add_f16_e32 v16, v16, v24
	v_fma_f16 v15, v14, s4, v12
	v_fma_f16 v12, v14, s7, v12
	v_add_f16_e32 v16, v16, v20
	v_fma_f16 v15, v9, s8, v15
	v_sub_f16_e32 v19, v23, v21
	v_sub_f16_e32 v20, v24, v20
	v_fma_f16 v9, v9, s5, v12
	v_add_f16_e32 v12, v25, v28
	v_add_f16_e32 v20, v19, v20
	v_fma_f16 v14, v12, -0.5, v13
	v_sub_f16_e32 v21, v29, v34
	v_fma_f16 v19, v20, s6, v15
	v_fma_f16 v12, v21, s4, v14
	v_sub_f16_e32 v23, v31, v32
	v_sub_f16_e32 v15, v30, v25
	;; [unrolled: 1-line block ×3, first 2 shown]
	v_fma_f16 v14, v21, s7, v14
	v_fma_f16 v12, v23, s5, v12
	v_add_f16_e32 v15, v15, v24
	v_fma_f16 v14, v23, s8, v14
	v_fma_f16 v12, v15, s6, v12
	;; [unrolled: 1-line block ×3, first 2 shown]
	v_add_f16_e32 v14, v30, v33
	v_fma_f16 v20, v20, s6, v9
	v_add_f16_e32 v9, v13, v30
	v_fma_f16 v14, v14, -0.5, v13
	v_add_f16_e32 v9, v9, v25
	v_fma_f16 v13, v23, s7, v14
	v_sub_f16_e32 v24, v25, v30
	v_sub_f16_e32 v35, v28, v33
	v_fma_f16 v14, v23, s4, v14
	v_add_f16_e32 v23, v31, v32
	v_add_f16_e32 v9, v9, v28
	v_fma_f16 v13, v21, s5, v13
	v_add_f16_e32 v24, v24, v35
	v_fma_f16 v14, v21, s8, v14
	v_fma_f16 v23, v23, -0.5, v22
	v_sub_f16_e32 v30, v30, v33
	v_add_f16_e32 v9, v9, v33
	v_fma_f16 v13, v24, s6, v13
	v_fma_f16 v14, v24, s6, v14
	;; [unrolled: 1-line block ×3, first 2 shown]
	v_sub_f16_e32 v28, v25, v28
	v_sub_f16_e32 v25, v29, v31
	;; [unrolled: 1-line block ×3, first 2 shown]
	v_fma_f16 v23, v30, s4, v23
	v_fma_f16 v24, v28, s8, v24
	v_add_f16_e32 v25, v25, v33
	v_fma_f16 v23, v28, s5, v23
	v_fma_f16 v24, v25, s6, v24
	;; [unrolled: 1-line block ×3, first 2 shown]
	v_add_f16_e32 v25, v29, v34
	v_add_f16_e32 v21, v22, v29
	v_fma_f16 v22, v25, -0.5, v22
	v_add_f16_e32 v21, v21, v31
	v_fma_f16 v25, v28, s4, v22
	v_sub_f16_e32 v29, v31, v29
	v_sub_f16_e32 v31, v32, v34
	v_fma_f16 v22, v28, s7, v22
	v_fma_f16 v25, v30, s8, v25
	v_add_f16_e32 v29, v29, v31
	v_fma_f16 v22, v30, s5, v22
	v_mul_u32_u24_e32 v28, 0x168, v36
	v_fma_f16 v25, v29, s6, v25
	v_fma_f16 v22, v29, s6, v22
	v_add3_u32 v28, 0, v28, v39
	v_pack_b32_f16 v29, v6, v16
	v_pack_b32_f16 v30, v7, v17
	v_add_f16_e32 v21, v21, v32
	ds_write2_b32 v28, v29, v30 offset1:18
	v_pack_b32_f16 v29, v10, v19
	v_pack_b32_f16 v30, v11, v20
	v_add_f16_e32 v21, v21, v34
	ds_write2_b32 v28, v29, v30 offset0:36 offset1:54
	v_pack_b32_f16 v29, v8, v18
	ds_write_b32 v28, v29 offset:288
	s_and_saveexec_b64 s[4:5], s[0:1]
	s_cbranch_execz .LBB0_27
; %bb.26:
	v_mov_b32_e32 v28, 2
	v_mul_u32_u24_e32 v26, 0x168, v26
	v_lshlrev_b32_sdwa v27, v28, v27 dst_sel:DWORD dst_unused:UNUSED_PAD src0_sel:DWORD src1_sel:BYTE_0
	s_mov_b32 s0, 0x5040100
	v_add3_u32 v26, 0, v26, v27
	v_perm_b32 v27, v21, v9, s0
	v_perm_b32 v28, v24, v12, s0
	ds_write2_b32 v26, v27, v28 offset1:18
	v_perm_b32 v27, v25, v13, s0
	v_perm_b32 v28, v22, v14, s0
	ds_write2_b32 v26, v27, v28 offset0:36 offset1:54
	v_perm_b32 v27, v23, v15, s0
	ds_write_b32 v26, v27 offset:288
.LBB0_27:
	s_or_b64 exec, exec, s[4:5]
	s_movk_i32 s0, 0x5a
	v_cmp_gt_u32_e64 s[0:1], s0, v5
	s_waitcnt lgkmcnt(0)
	s_barrier
	s_waitcnt lgkmcnt(0)
                                        ; implicit-def: $vgpr27
                                        ; implicit-def: $vgpr26
	s_and_saveexec_b64 s[4:5], s[0:1]
	s_cbranch_execz .LBB0_29
; %bb.28:
	v_add_u32_e32 v8, 0x200, v0
	v_add_u32_e32 v9, 0x400, v0
	;; [unrolled: 1-line block ×3, first 2 shown]
	ds_read2_b32 v[6:7], v0 offset1:90
	ds_read2_b32 v[10:11], v8 offset0:52 offset1:142
	ds_read2_b32 v[14:15], v12 offset0:80 offset1:170
	;; [unrolled: 1-line block ×3, first 2 shown]
	ds_read_b32 v26, v0 offset:3600
	v_add_u32_e32 v12, 0x800, v0
	ds_read2_b32 v[12:13], v12 offset0:28 offset1:118
	s_waitcnt lgkmcnt(5)
	v_lshrrev_b32_e32 v16, 16, v6
	s_waitcnt lgkmcnt(3)
	v_lshrrev_b32_e32 v22, 16, v14
	v_lshrrev_b32_e32 v23, 16, v15
	s_waitcnt lgkmcnt(1)
	v_lshrrev_b32_e32 v27, 16, v26
	v_lshrrev_b32_e32 v17, 16, v7
	;; [unrolled: 1-line block ×6, first 2 shown]
	s_waitcnt lgkmcnt(0)
	v_lshrrev_b32_e32 v24, 16, v12
	v_lshrrev_b32_e32 v25, 16, v13
.LBB0_29:
	s_or_b64 exec, exec, s[4:5]
	s_barrier
	s_and_saveexec_b64 s[4:5], s[0:1]
	s_cbranch_execz .LBB0_31
; %bb.30:
	v_add_u32_e32 v28, 0xffffffa6, v5
	v_cndmask_b32_e64 v28, v28, v5, s[0:1]
	v_mul_i32_i24_e32 v28, 10, v28
	v_mov_b32_e32 v29, 0
	v_lshlrev_b64 v[28:29], 2, v[28:29]
	v_mov_b32_e32 v30, s13
	v_add_co_u32_e64 v36, s[0:1], s12, v28
	v_addc_co_u32_e64 v37, s[0:1], v30, v29, s[0:1]
	global_load_dwordx2 v[38:39], v[36:37], off offset:384
	global_load_dwordx4 v[28:31], v[36:37], off offset:352
	global_load_dwordx4 v[32:35], v[36:37], off offset:368
	s_movk_i32 s0, 0x36a6
	s_movk_i32 s6, 0x3b47
	s_mov_b32 s1, 0xb93d
	s_movk_i32 s12, 0x3a0c
	s_mov_b32 s8, 0xb482
	s_mov_b32 s9, 0xbbeb
	;; [unrolled: 1-line block ×5, first 2 shown]
	s_movk_i32 s15, 0x3abb
	s_movk_i32 s16, 0x3beb
	s_mov_b32 s17, 0xbb47
	s_movk_i32 s18, 0x3853
	s_movk_i32 s19, 0x3482
	s_waitcnt vmcnt(2)
	v_mul_f16_sdwa v36, v26, v39 dst_sel:DWORD dst_unused:UNUSED_PAD src0_sel:DWORD src1_sel:WORD_1
	s_waitcnt vmcnt(1)
	v_mul_f16_sdwa v37, v7, v28 dst_sel:DWORD dst_unused:UNUSED_PAD src0_sel:DWORD src1_sel:WORD_1
	v_mul_f16_sdwa v40, v17, v28 dst_sel:DWORD dst_unused:UNUSED_PAD src0_sel:DWORD src1_sel:WORD_1
	;; [unrolled: 1-line block ×5, first 2 shown]
	s_waitcnt vmcnt(0)
	v_mul_f16_sdwa v46, v14, v35 dst_sel:DWORD dst_unused:UNUSED_PAD src0_sel:DWORD src1_sel:WORD_1
	v_mul_f16_sdwa v49, v22, v35 dst_sel:DWORD dst_unused:UNUSED_PAD src0_sel:DWORD src1_sel:WORD_1
	v_fma_f16 v27, v27, v39, v36
	v_fma_f16 v17, v17, v28, v37
	v_mul_f16_sdwa v44, v19, v29 dst_sel:DWORD dst_unused:UNUSED_PAD src0_sel:DWORD src1_sel:WORD_1
	v_mul_f16_sdwa v45, v23, v38 dst_sel:DWORD dst_unused:UNUSED_PAD src0_sel:DWORD src1_sel:WORD_1
	;; [unrolled: 1-line block ×6, first 2 shown]
	v_fma_f16 v26, v26, v39, -v41
	v_fma_f16 v23, v23, v38, v42
	v_fma_f16 v19, v19, v29, v43
	;; [unrolled: 1-line block ×3, first 2 shown]
	v_fma_f16 v7, v7, v28, -v40
	v_fma_f16 v14, v14, v35, -v49
	v_add_f16_e32 v28, v17, v27
	v_sub_f16_e32 v35, v17, v27
	v_mul_f16_sdwa v51, v8, v31 dst_sel:DWORD dst_unused:UNUSED_PAD src0_sel:DWORD src1_sel:WORD_1
	v_mul_f16_sdwa v52, v18, v31 dst_sel:DWORD dst_unused:UNUSED_PAD src0_sel:DWORD src1_sel:WORD_1
	;; [unrolled: 1-line block ×4, first 2 shown]
	v_fma_f16 v15, v15, v38, -v45
	v_fma_f16 v10, v10, v29, -v44
	;; [unrolled: 1-line block ×3, first 2 shown]
	v_fma_f16 v20, v20, v30, v47
	v_fma_f16 v25, v25, v34, v50
	v_fma_f16 v13, v13, v34, -v53
	v_sub_f16_e32 v29, v7, v26
	v_add_f16_e32 v30, v19, v23
	v_add_f16_e32 v34, v7, v26
	v_sub_f16_e32 v37, v19, v23
	v_mul_f16_e32 v43, 0x36a6, v28
	v_mul_f16_e32 v46, 0xbb47, v35
	v_mul_f16_sdwa v54, v12, v33 dst_sel:DWORD dst_unused:UNUSED_PAD src0_sel:DWORD src1_sel:WORD_1
	v_mul_f16_sdwa v57, v24, v33 dst_sel:DWORD dst_unused:UNUSED_PAD src0_sel:DWORD src1_sel:WORD_1
	v_fma_f16 v18, v18, v31, v51
	v_fma_f16 v8, v8, v31, -v52
	v_fma_f16 v21, v21, v32, v55
	v_fma_f16 v9, v9, v32, -v56
	v_sub_f16_e32 v31, v10, v15
	v_add_f16_e32 v32, v20, v22
	v_add_f16_e32 v36, v10, v15
	v_mul_f16_e32 v44, 0xb93d, v30
	v_mul_f16_e32 v47, 0xba0c, v37
	v_fma_f16 v50, v29, s6, v43
	v_fma_f16 v52, v34, s0, v46
	;; [unrolled: 1-line block ×3, first 2 shown]
	v_fma_f16 v12, v12, v33, -v57
	v_sub_f16_e32 v33, v11, v14
	v_add_f16_e32 v38, v18, v25
	v_mul_f16_e32 v45, 0xbbad, v32
	v_fma_f16 v51, v31, s12, v44
	v_fma_f16 v53, v36, s1, v47
	v_add_f16_e32 v50, v16, v50
	v_add_f16_e32 v52, v6, v52
	v_sub_f16_e32 v39, v8, v13
	v_add_f16_e32 v40, v21, v24
	v_mul_f16_e32 v48, 0xb08e, v38
	v_fma_f16 v54, v33, s8, v45
	v_add_f16_e32 v50, v51, v50
	v_add_f16_e32 v51, v53, v52
	v_sub_f16_e32 v52, v20, v22
	v_sub_f16_e32 v41, v9, v12
	v_add_f16_e32 v42, v11, v14
	v_mul_f16_e32 v49, 0x3abb, v40
	v_fma_f16 v55, v39, s9, v48
	v_add_f16_e32 v50, v54, v50
	v_mul_f16_e32 v53, 0x3482, v52
	v_fma_f16 v56, v41, s14, v49
	v_add_f16_e32 v50, v55, v50
	v_fma_f16 v54, v42, s7, v53
	v_sub_f16_e32 v55, v18, v25
	v_add_f16_e32 v50, v56, v50
	v_add_f16_e32 v51, v54, v51
	;; [unrolled: 1-line block ×3, first 2 shown]
	v_mul_f16_e32 v56, 0x3beb, v55
	v_fma_f16 v57, v54, s13, v56
	v_sub_f16_e32 v58, v21, v24
	v_add_f16_e32 v51, v57, v51
	v_add_f16_e32 v57, v9, v12
	v_mul_f16_e32 v59, 0x3853, v58
	v_fma_f16 v60, v57, s15, v59
	v_add_f16_e32 v51, v60, v51
	v_mul_f16_e32 v60, 0xb08e, v28
	v_fma_f16 v61, v29, s16, v60
	v_mul_f16_e32 v62, 0xbbad, v30
	v_add_f16_e32 v61, v16, v61
	v_fma_f16 v63, v31, s8, v62
	v_add_f16_e32 v61, v63, v61
	v_mul_f16_e32 v63, 0x36a6, v32
	v_fma_f16 v64, v33, s17, v63
	v_add_f16_e32 v61, v64, v61
	v_mul_f16_e32 v64, 0x3abb, v38
	v_fma_f16 v65, v39, s18, v64
	v_add_f16_e32 v61, v65, v61
	v_mul_f16_e32 v65, 0xb93d, v40
	v_fma_f16 v66, v41, s12, v65
	v_add_f16_e32 v61, v66, v61
	v_mul_f16_e32 v66, 0xbbeb, v35
	v_fma_f16 v67, v34, s13, v66
	v_mul_f16_e32 v68, 0x3482, v37
	v_add_f16_e32 v67, v6, v67
	v_fma_f16 v69, v36, s7, v68
	v_add_f16_e32 v67, v69, v67
	v_mul_f16_e32 v69, 0x3b47, v52
	v_fma_f16 v70, v42, s0, v69
	v_add_f16_e32 v67, v70, v67
	v_mul_f16_e32 v70, 0xb853, v55
	v_fma_f16 v71, v54, s15, v70
	v_add_f16_e32 v67, v71, v67
	v_mul_f16_e32 v71, 0xba0c, v58
	v_fma_f16 v72, v57, s1, v71
	v_add_f16_e32 v67, v72, v67
	v_mul_f16_e32 v72, 0xb93d, v28
	v_fma_f16 v73, v29, s12, v72
	v_mul_f16_e32 v74, 0xb08e, v30
	v_add_f16_e32 v73, v16, v73
	v_fma_f16 v75, v31, s9, v74
	v_add_f16_e32 v73, v75, v73
	v_mul_f16_e32 v75, 0x3abb, v32
	v_fma_f16 v76, v33, s18, v75
	v_add_f16_e32 v73, v76, v73
	v_mul_f16_e32 v76, 0xbbad, v38
	v_fma_f16 v77, v39, s19, v76
	v_add_f16_e32 v73, v77, v73
	v_mul_f16_e32 v77, 0x36a6, v40
	v_fma_f16 v78, v41, s17, v77
	v_add_f16_e32 v73, v78, v73
	v_mul_f16_e32 v78, 0xba0c, v35
	v_fma_f16 v79, v34, s1, v78
	v_mul_f16_e32 v80, 0x3beb, v37
	v_add_f16_e32 v79, v6, v79
	v_fma_f16 v81, v36, s13, v80
	v_add_f16_e32 v79, v81, v79
	v_mul_f16_e32 v81, 0xb853, v52
	v_fma_f16 v82, v42, s15, v81
	v_add_f16_e32 v79, v82, v79
	v_mul_f16_e32 v82, 0xb482, v55
	v_fma_f16 v83, v54, s7, v82
	v_add_f16_e32 v79, v83, v79
	v_mul_f16_e32 v83, 0x3b47, v58
	v_fma_f16 v84, v57, s0, v83
	v_add_f16_e32 v79, v84, v79
	v_mul_f16_e32 v84, 0xbbad, v28
	v_fma_f16 v85, v29, s19, v84
	v_mul_f16_e32 v86, 0x3abb, v30
	v_add_f16_e32 v85, v16, v85
	v_fma_f16 v87, v31, s14, v86
	v_add_f16_e32 v85, v87, v85
	v_mul_f16_e32 v87, 0xb93d, v32
	v_fma_f16 v88, v33, s12, v87
	s_mov_b32 s12, 0xba0c
	v_fma_f16 v43, v29, s17, v43
	v_add_f16_e32 v43, v16, v43
	v_fma_f16 v44, v31, s12, v44
	v_add_f16_e32 v43, v44, v43
	;; [unrolled: 2-line block ×5, first 2 shown]
	v_fma_f16 v44, v34, s0, -v46
	v_add_f16_e32 v44, v6, v44
	v_fma_f16 v45, v36, s1, -v47
	v_add_f16_e32 v44, v45, v44
	;; [unrolled: 2-line block ×3, first 2 shown]
	v_fma_f16 v45, v54, s13, -v56
	v_fma_f16 v84, v29, s8, v84
	v_fma_f16 v72, v29, s12, v72
	;; [unrolled: 1-line block ×3, first 2 shown]
	v_add_f16_e32 v44, v45, v44
	v_fma_f16 v45, v57, s15, -v59
	v_mul_f16_e32 v29, 0xb853, v29
	v_add_f16_e32 v85, v88, v85
	v_mul_f16_e32 v88, 0x36a6, v38
	v_add_f16_e32 v84, v16, v84
	v_fma_f16 v86, v31, s18, v86
	v_add_f16_e32 v72, v16, v72
	v_fma_f16 v74, v31, s16, v74
	;; [unrolled: 2-line block ×4, first 2 shown]
	v_mul_f16_e32 v31, 0xbb47, v31
	v_fma_f16 v89, v39, s17, v88
	v_add_f16_e32 v84, v86, v84
	v_fma_f16 v86, v33, s12, v87
	v_add_f16_e32 v72, v74, v72
	v_fma_f16 v74, v33, s14, v75
	v_add_f16_e32 v60, v62, v60
	v_fma_f16 v62, v33, s6, v63
	v_add_f16_e32 v45, v16, v45
	v_fma_f16 v46, v30, s0, v31
	v_mul_f16_e32 v33, 0xbbeb, v33
	v_add_f16_e32 v7, v6, v7
	v_add_f16_e32 v85, v89, v85
	v_mul_f16_e32 v89, 0xb08e, v40
	v_add_f16_e32 v84, v86, v84
	v_fma_f16 v86, v39, s6, v88
	v_add_f16_e32 v72, v74, v72
	v_fma_f16 v74, v39, s8, v76
	;; [unrolled: 2-line block ×4, first 2 shown]
	v_mul_f16_e32 v39, 0xba0c, v39
	v_add_f16_e32 v7, v7, v10
	v_fma_f16 v90, v41, s16, v89
	v_add_f16_e32 v84, v86, v84
	v_fma_f16 v86, v41, s9, v89
	;; [unrolled: 2-line block ×5, first 2 shown]
	v_mul_f16_e32 v41, 0xb482, v41
	v_add_f16_e32 v7, v7, v11
	v_add_f16_e32 v85, v90, v85
	v_mul_f16_e32 v90, 0xb482, v35
	v_add_f16_e32 v45, v46, v45
	v_fma_f16 v46, v40, s7, v41
	v_mul_f16_e32 v35, 0xb853, v35
	v_add_f16_e32 v7, v7, v8
	v_add_f16_e32 v8, v16, v17
	v_mul_f16_e32 v92, 0x3853, v37
	v_add_f16_e32 v45, v46, v45
	v_fma_f16 v46, v34, s15, -v35
	v_mul_f16_e32 v37, 0xbb47, v37
	v_add_f16_e32 v7, v7, v9
	v_add_f16_e32 v8, v8, v19
	v_fma_f16 v9, v28, s15, -v29
	v_add_f16_e32 v46, v6, v46
	v_fma_f16 v47, v36, s0, -v37
	v_add_f16_e32 v8, v8, v20
	v_add_f16_e32 v9, v16, v9
	v_fma_f16 v10, v30, s0, -v31
	v_fma_f16 v91, v34, s7, v90
	v_add_f16_e32 v46, v47, v46
	v_mul_f16_e32 v47, 0xbbeb, v52
	v_add_f16_e32 v8, v8, v18
	v_add_f16_e32 v9, v10, v9
	v_fma_f16 v10, v32, s13, -v33
	v_add_f16_e32 v91, v6, v91
	v_fma_f16 v93, v36, s15, v92
	v_fma_f16 v48, v42, s13, -v47
	v_add_f16_e32 v8, v8, v21
	v_add_f16_e32 v9, v10, v9
	v_fma_f16 v10, v38, s1, -v39
	v_add_f16_e32 v91, v93, v91
	v_mul_f16_e32 v93, 0xba0c, v52
	v_add_f16_e32 v60, v62, v60
	v_fma_f16 v62, v34, s13, -v66
	v_add_f16_e32 v46, v48, v46
	v_mul_f16_e32 v48, 0xba0c, v55
	v_add_f16_e32 v7, v7, v12
	v_add_f16_e32 v8, v8, v24
	;; [unrolled: 1-line block ×3, first 2 shown]
	v_fma_f16 v10, v40, s7, -v41
	v_fma_f16 v94, v42, s1, v93
	v_add_f16_e32 v84, v86, v84
	v_fma_f16 v86, v34, s7, -v90
	v_add_f16_e32 v72, v74, v72
	v_fma_f16 v74, v34, s1, -v78
	;; [unrolled: 2-line block ×3, first 2 shown]
	v_fma_f16 v49, v54, s1, -v48
	v_add_f16_e32 v7, v7, v13
	v_add_f16_e32 v8, v8, v25
	;; [unrolled: 1-line block ×3, first 2 shown]
	v_fma_f16 v10, v34, s15, v35
	v_add_f16_e32 v91, v94, v91
	v_mul_f16_e32 v94, 0x3b47, v55
	v_add_f16_e32 v86, v6, v86
	v_fma_f16 v87, v36, s15, -v92
	v_add_f16_e32 v74, v6, v74
	v_fma_f16 v75, v36, s13, -v80
	;; [unrolled: 2-line block ×3, first 2 shown]
	v_add_f16_e32 v46, v49, v46
	v_mul_f16_e32 v49, 0xb482, v58
	v_add_f16_e32 v7, v7, v14
	v_add_f16_e32 v8, v8, v22
	;; [unrolled: 1-line block ×3, first 2 shown]
	v_fma_f16 v10, v36, s0, v37
	v_fma_f16 v95, v54, s0, v94
	v_add_f16_e32 v86, v87, v86
	v_fma_f16 v87, v42, s1, -v93
	v_add_f16_e32 v74, v75, v74
	v_fma_f16 v75, v42, s15, -v81
	v_add_f16_e32 v62, v63, v62
	v_fma_f16 v63, v54, s15, -v70
	v_fma_f16 v52, v57, s7, -v49
	v_add_f16_e32 v7, v7, v15
	v_add_f16_e32 v8, v8, v23
	;; [unrolled: 1-line block ×3, first 2 shown]
	v_fma_f16 v10, v42, s13, v47
	v_add_f16_e32 v91, v95, v91
	v_mul_f16_e32 v95, 0xbbeb, v58
	v_add_f16_e32 v86, v87, v86
	v_fma_f16 v87, v54, s0, -v94
	v_add_f16_e32 v74, v75, v74
	v_fma_f16 v75, v54, s7, -v82
	;; [unrolled: 2-line block ×3, first 2 shown]
	v_add_f16_e32 v46, v52, v46
	v_add_f16_e32 v7, v7, v26
	;; [unrolled: 1-line block ×4, first 2 shown]
	v_fma_f16 v10, v54, s1, v48
	v_add_f16_e32 v86, v87, v86
	v_fma_f16 v87, v57, s13, -v95
	v_add_f16_e32 v74, v75, v74
	v_fma_f16 v75, v57, s0, -v83
	v_add_f16_e32 v62, v63, v62
	v_add_f16_e32 v6, v10, v6
	v_fma_f16 v10, v57, s7, v49
	v_pack_b32_f16 v7, v7, v8
	v_pack_b32_f16 v8, v46, v45
	v_fma_f16 v96, v57, s13, v95
	v_add_f16_e32 v86, v87, v86
	v_add_f16_e32 v74, v75, v74
	;; [unrolled: 1-line block ×3, first 2 shown]
	ds_write2_b32 v0, v7, v8 offset1:90
	v_pack_b32_f16 v7, v44, v43
	v_pack_b32_f16 v8, v62, v60
	v_add_u32_e32 v10, 0x200, v0
	v_add_f16_e32 v91, v96, v91
	ds_write2_b32 v10, v7, v8 offset0:52 offset1:142
	v_pack_b32_f16 v7, v74, v72
	v_pack_b32_f16 v8, v86, v84
	v_add_u32_e32 v10, 0x400, v0
	ds_write2_b32 v10, v7, v8 offset0:104 offset1:194
	v_pack_b32_f16 v7, v91, v85
	v_pack_b32_f16 v8, v79, v73
	v_add_u32_e32 v10, 0x800, v0
	;; [unrolled: 4-line block ×3, first 2 shown]
	v_pack_b32_f16 v6, v6, v9
	ds_write2_b32 v10, v7, v8 offset0:80 offset1:170
	ds_write_b32 v0, v6 offset:3600
.LBB0_31:
	s_or_b64 exec, exec, s[4:5]
	s_waitcnt lgkmcnt(0)
	s_barrier
	s_and_saveexec_b64 s[0:1], vcc
	s_cbranch_execz .LBB0_33
; %bb.32:
	v_mul_lo_u32 v0, s3, v3
	v_mul_lo_u32 v6, s2, v4
	v_mad_u64_u32 v[3:4], s[0:1], s2, v3, 0
	v_lshl_add_u32 v9, v5, 2, 0
	ds_read2_b32 v[7:8], v9 offset1:110
	v_add3_u32 v4, v4, v6, v0
	v_lshlrev_b64 v[3:4], 2, v[3:4]
	v_mov_b32_e32 v0, s11
	v_add_co_u32_e32 v3, vcc, s10, v3
	v_addc_co_u32_e32 v4, vcc, v0, v4, vcc
	v_lshlrev_b64 v[0:1], 2, v[1:2]
	v_mov_b32_e32 v6, 0
	v_add_co_u32_e32 v10, vcc, v3, v0
	v_addc_co_u32_e32 v4, vcc, v4, v1, vcc
	v_lshlrev_b64 v[0:1], 2, v[5:6]
	v_add_u32_e32 v2, 0x200, v9
	v_add_co_u32_e32 v0, vcc, v10, v0
	v_addc_co_u32_e32 v1, vcc, v4, v1, vcc
	s_waitcnt lgkmcnt(0)
	global_store_dword v[0:1], v7, off
	v_add_u32_e32 v0, 0x6e, v5
	v_mov_b32_e32 v1, v6
	v_lshlrev_b64 v[0:1], 2, v[0:1]
	ds_read2_b32 v[2:3], v2 offset0:92 offset1:202
	v_add_co_u32_e32 v0, vcc, v10, v0
	v_addc_co_u32_e32 v1, vcc, v4, v1, vcc
	global_store_dword v[0:1], v8, off
	v_add_u32_e32 v0, 0xdc, v5
	v_mov_b32_e32 v1, v6
	v_lshlrev_b64 v[0:1], 2, v[0:1]
	v_add_co_u32_e32 v0, vcc, v10, v0
	v_addc_co_u32_e32 v1, vcc, v4, v1, vcc
	s_waitcnt lgkmcnt(0)
	global_store_dword v[0:1], v2, off
	v_add_u32_e32 v0, 0x14a, v5
	v_mov_b32_e32 v1, v6
	v_lshlrev_b64 v[0:1], 2, v[0:1]
	v_add_u32_e32 v2, 0x600, v9
	v_add_co_u32_e32 v0, vcc, v10, v0
	v_addc_co_u32_e32 v1, vcc, v4, v1, vcc
	global_store_dword v[0:1], v3, off
	v_add_u32_e32 v0, 0x1b8, v5
	v_mov_b32_e32 v1, v6
	ds_read2_b32 v[2:3], v2 offset0:56 offset1:166
	v_lshlrev_b64 v[0:1], 2, v[0:1]
	v_add_co_u32_e32 v0, vcc, v10, v0
	v_addc_co_u32_e32 v1, vcc, v4, v1, vcc
	s_waitcnt lgkmcnt(0)
	global_store_dword v[0:1], v2, off
	v_add_u32_e32 v0, 0x226, v5
	v_mov_b32_e32 v1, v6
	v_lshlrev_b64 v[0:1], 2, v[0:1]
	v_add_u32_e32 v2, 0xa00, v9
	v_add_co_u32_e32 v0, vcc, v10, v0
	v_addc_co_u32_e32 v1, vcc, v4, v1, vcc
	global_store_dword v[0:1], v3, off
	v_add_u32_e32 v0, 0x294, v5
	v_mov_b32_e32 v1, v6
	ds_read2_b32 v[2:3], v2 offset0:20 offset1:130
	v_lshlrev_b64 v[0:1], 2, v[0:1]
	v_add_co_u32_e32 v0, vcc, v10, v0
	v_addc_co_u32_e32 v1, vcc, v4, v1, vcc
	s_waitcnt lgkmcnt(0)
	global_store_dword v[0:1], v2, off
	v_add_u32_e32 v0, 0x302, v5
	v_mov_b32_e32 v1, v6
	v_lshlrev_b64 v[0:1], 2, v[0:1]
	v_add_u32_e32 v5, 0x370, v5
	v_add_co_u32_e32 v0, vcc, v10, v0
	v_addc_co_u32_e32 v1, vcc, v4, v1, vcc
	ds_read_b32 v2, v9 offset:3520
	global_store_dword v[0:1], v3, off
	v_lshlrev_b64 v[0:1], 2, v[5:6]
	v_add_co_u32_e32 v0, vcc, v10, v0
	v_addc_co_u32_e32 v1, vcc, v4, v1, vcc
	s_waitcnt lgkmcnt(0)
	global_store_dword v[0:1], v2, off
.LBB0_33:
	s_endpgm
	.section	.rodata,"a",@progbits
	.p2align	6, 0x0
	.amdhsa_kernel fft_rtc_fwd_len990_factors_2_3_3_5_11_wgs_110_tpt_110_half_op_CI_CI_unitstride_sbrr_C2R_dirReg
		.amdhsa_group_segment_fixed_size 0
		.amdhsa_private_segment_fixed_size 0
		.amdhsa_kernarg_size 104
		.amdhsa_user_sgpr_count 6
		.amdhsa_user_sgpr_private_segment_buffer 1
		.amdhsa_user_sgpr_dispatch_ptr 0
		.amdhsa_user_sgpr_queue_ptr 0
		.amdhsa_user_sgpr_kernarg_segment_ptr 1
		.amdhsa_user_sgpr_dispatch_id 0
		.amdhsa_user_sgpr_flat_scratch_init 0
		.amdhsa_user_sgpr_private_segment_size 0
		.amdhsa_uses_dynamic_stack 0
		.amdhsa_system_sgpr_private_segment_wavefront_offset 0
		.amdhsa_system_sgpr_workgroup_id_x 1
		.amdhsa_system_sgpr_workgroup_id_y 0
		.amdhsa_system_sgpr_workgroup_id_z 0
		.amdhsa_system_sgpr_workgroup_info 0
		.amdhsa_system_vgpr_workitem_id 0
		.amdhsa_next_free_vgpr 97
		.amdhsa_next_free_sgpr 28
		.amdhsa_reserve_vcc 1
		.amdhsa_reserve_flat_scratch 0
		.amdhsa_float_round_mode_32 0
		.amdhsa_float_round_mode_16_64 0
		.amdhsa_float_denorm_mode_32 3
		.amdhsa_float_denorm_mode_16_64 3
		.amdhsa_dx10_clamp 1
		.amdhsa_ieee_mode 1
		.amdhsa_fp16_overflow 0
		.amdhsa_exception_fp_ieee_invalid_op 0
		.amdhsa_exception_fp_denorm_src 0
		.amdhsa_exception_fp_ieee_div_zero 0
		.amdhsa_exception_fp_ieee_overflow 0
		.amdhsa_exception_fp_ieee_underflow 0
		.amdhsa_exception_fp_ieee_inexact 0
		.amdhsa_exception_int_div_zero 0
	.end_amdhsa_kernel
	.text
.Lfunc_end0:
	.size	fft_rtc_fwd_len990_factors_2_3_3_5_11_wgs_110_tpt_110_half_op_CI_CI_unitstride_sbrr_C2R_dirReg, .Lfunc_end0-fft_rtc_fwd_len990_factors_2_3_3_5_11_wgs_110_tpt_110_half_op_CI_CI_unitstride_sbrr_C2R_dirReg
                                        ; -- End function
	.section	.AMDGPU.csdata,"",@progbits
; Kernel info:
; codeLenInByte = 8984
; NumSgprs: 32
; NumVgprs: 97
; ScratchSize: 0
; MemoryBound: 0
; FloatMode: 240
; IeeeMode: 1
; LDSByteSize: 0 bytes/workgroup (compile time only)
; SGPRBlocks: 3
; VGPRBlocks: 24
; NumSGPRsForWavesPerEU: 32
; NumVGPRsForWavesPerEU: 97
; Occupancy: 2
; WaveLimiterHint : 1
; COMPUTE_PGM_RSRC2:SCRATCH_EN: 0
; COMPUTE_PGM_RSRC2:USER_SGPR: 6
; COMPUTE_PGM_RSRC2:TRAP_HANDLER: 0
; COMPUTE_PGM_RSRC2:TGID_X_EN: 1
; COMPUTE_PGM_RSRC2:TGID_Y_EN: 0
; COMPUTE_PGM_RSRC2:TGID_Z_EN: 0
; COMPUTE_PGM_RSRC2:TIDIG_COMP_CNT: 0
	.type	__hip_cuid_3ab11c777a655779,@object ; @__hip_cuid_3ab11c777a655779
	.section	.bss,"aw",@nobits
	.globl	__hip_cuid_3ab11c777a655779
__hip_cuid_3ab11c777a655779:
	.byte	0                               ; 0x0
	.size	__hip_cuid_3ab11c777a655779, 1

	.ident	"AMD clang version 19.0.0git (https://github.com/RadeonOpenCompute/llvm-project roc-6.4.0 25133 c7fe45cf4b819c5991fe208aaa96edf142730f1d)"
	.section	".note.GNU-stack","",@progbits
	.addrsig
	.addrsig_sym __hip_cuid_3ab11c777a655779
	.amdgpu_metadata
---
amdhsa.kernels:
  - .args:
      - .actual_access:  read_only
        .address_space:  global
        .offset:         0
        .size:           8
        .value_kind:     global_buffer
      - .offset:         8
        .size:           8
        .value_kind:     by_value
      - .actual_access:  read_only
        .address_space:  global
        .offset:         16
        .size:           8
        .value_kind:     global_buffer
      - .actual_access:  read_only
        .address_space:  global
        .offset:         24
        .size:           8
        .value_kind:     global_buffer
      - .actual_access:  read_only
        .address_space:  global
        .offset:         32
        .size:           8
        .value_kind:     global_buffer
      - .offset:         40
        .size:           8
        .value_kind:     by_value
      - .actual_access:  read_only
        .address_space:  global
        .offset:         48
        .size:           8
        .value_kind:     global_buffer
      - .actual_access:  read_only
        .address_space:  global
        .offset:         56
        .size:           8
        .value_kind:     global_buffer
      - .offset:         64
        .size:           4
        .value_kind:     by_value
      - .actual_access:  read_only
        .address_space:  global
        .offset:         72
        .size:           8
        .value_kind:     global_buffer
      - .actual_access:  read_only
        .address_space:  global
        .offset:         80
        .size:           8
        .value_kind:     global_buffer
      - .actual_access:  read_only
        .address_space:  global
        .offset:         88
        .size:           8
        .value_kind:     global_buffer
      - .actual_access:  write_only
        .address_space:  global
        .offset:         96
        .size:           8
        .value_kind:     global_buffer
    .group_segment_fixed_size: 0
    .kernarg_segment_align: 8
    .kernarg_segment_size: 104
    .language:       OpenCL C
    .language_version:
      - 2
      - 0
    .max_flat_workgroup_size: 110
    .name:           fft_rtc_fwd_len990_factors_2_3_3_5_11_wgs_110_tpt_110_half_op_CI_CI_unitstride_sbrr_C2R_dirReg
    .private_segment_fixed_size: 0
    .sgpr_count:     32
    .sgpr_spill_count: 0
    .symbol:         fft_rtc_fwd_len990_factors_2_3_3_5_11_wgs_110_tpt_110_half_op_CI_CI_unitstride_sbrr_C2R_dirReg.kd
    .uniform_work_group_size: 1
    .uses_dynamic_stack: false
    .vgpr_count:     97
    .vgpr_spill_count: 0
    .wavefront_size: 64
amdhsa.target:   amdgcn-amd-amdhsa--gfx906
amdhsa.version:
  - 1
  - 2
...

	.end_amdgpu_metadata
